;; amdgpu-corpus repo=ROCm/rocFFT kind=compiled arch=gfx906 opt=O3
	.text
	.amdgcn_target "amdgcn-amd-amdhsa--gfx906"
	.amdhsa_code_object_version 6
	.protected	fft_rtc_back_len168_factors_7_6_4_wgs_252_tpt_42_halfLds_dp_ip_CI_sbcc_twdbase8_3step ; -- Begin function fft_rtc_back_len168_factors_7_6_4_wgs_252_tpt_42_halfLds_dp_ip_CI_sbcc_twdbase8_3step
	.globl	fft_rtc_back_len168_factors_7_6_4_wgs_252_tpt_42_halfLds_dp_ip_CI_sbcc_twdbase8_3step
	.p2align	8
	.type	fft_rtc_back_len168_factors_7_6_4_wgs_252_tpt_42_halfLds_dp_ip_CI_sbcc_twdbase8_3step,@function
fft_rtc_back_len168_factors_7_6_4_wgs_252_tpt_42_halfLds_dp_ip_CI_sbcc_twdbase8_3step: ; @fft_rtc_back_len168_factors_7_6_4_wgs_252_tpt_42_halfLds_dp_ip_CI_sbcc_twdbase8_3step
; %bb.0:
	s_load_dwordx4 s[0:3], s[4:5], 0x18
	s_mov_b32 s7, 0
	s_mov_b64 s[24:25], 0
	s_waitcnt lgkmcnt(0)
	s_load_dwordx2 s[20:21], s[0:1], 0x8
	s_waitcnt lgkmcnt(0)
	s_add_u32 s8, s20, -1
	s_addc_u32 s9, s21, -1
	s_add_u32 s10, 0, 0xaaa80000
	s_addc_u32 s11, 0, 0xaa
	s_mul_hi_u32 s13, s10, -6
	s_add_i32 s11, s11, 0x2aaaaa00
	s_sub_i32 s13, s13, s10
	s_mul_i32 s16, s11, -6
	s_mul_i32 s12, s10, -6
	s_add_i32 s13, s13, s16
	s_mul_hi_u32 s14, s11, s12
	s_mul_i32 s15, s11, s12
	s_mul_i32 s17, s10, s13
	s_mul_hi_u32 s12, s10, s12
	s_mul_hi_u32 s16, s10, s13
	s_add_u32 s12, s12, s17
	s_addc_u32 s16, 0, s16
	s_add_u32 s12, s12, s15
	s_mul_hi_u32 s17, s11, s13
	s_addc_u32 s12, s16, s14
	s_addc_u32 s14, s17, 0
	s_mul_i32 s13, s11, s13
	s_add_u32 s12, s12, s13
	v_mov_b32_e32 v1, s12
	s_addc_u32 s13, 0, s14
	v_add_co_u32_e32 v1, vcc, s10, v1
	s_cmp_lg_u64 vcc, 0
	s_addc_u32 s10, s11, s13
	v_readfirstlane_b32 s13, v1
	s_mul_i32 s12, s8, s10
	s_mul_hi_u32 s14, s8, s13
	s_mul_hi_u32 s11, s8, s10
	s_add_u32 s12, s14, s12
	s_addc_u32 s11, 0, s11
	s_mul_hi_u32 s15, s9, s13
	s_mul_i32 s13, s9, s13
	s_add_u32 s12, s12, s13
	s_mul_hi_u32 s14, s9, s10
	s_addc_u32 s11, s11, s15
	s_addc_u32 s12, s14, 0
	s_mul_i32 s10, s9, s10
	s_add_u32 s10, s11, s10
	s_addc_u32 s11, 0, s12
	s_add_u32 s12, s10, 1
	s_addc_u32 s13, s11, 0
	s_add_u32 s14, s10, 2
	s_mul_i32 s16, s11, 6
	s_mul_hi_u32 s17, s10, 6
	s_addc_u32 s15, s11, 0
	s_add_i32 s17, s17, s16
	s_mul_i32 s16, s10, 6
	v_mov_b32_e32 v1, s16
	v_sub_co_u32_e32 v1, vcc, s8, v1
	s_cmp_lg_u64 vcc, 0
	s_subb_u32 s8, s9, s17
	v_subrev_co_u32_e32 v2, vcc, 6, v1
	s_cmp_lg_u64 vcc, 0
	s_subb_u32 s9, s8, 0
	v_readfirstlane_b32 s16, v2
	s_cmp_gt_u32 s16, 5
	s_cselect_b32 s16, -1, 0
	s_cmp_eq_u32 s9, 0
	s_cselect_b32 s9, s16, -1
	s_cmp_lg_u32 s9, 0
	s_cselect_b32 s9, s14, s12
	s_cselect_b32 s12, s15, s13
	v_readfirstlane_b32 s13, v1
	s_cmp_gt_u32 s13, 5
	s_cselect_b32 s13, -1, 0
	s_cmp_eq_u32 s8, 0
	s_cselect_b32 s8, s13, -1
	s_cmp_lg_u32 s8, 0
	s_cselect_b32 s9, s9, s10
	s_cselect_b32 s8, s12, s11
	s_add_u32 s22, s9, 1
	s_addc_u32 s23, s8, 0
	v_mov_b32_e32 v1, s22
	v_mov_b32_e32 v2, s23
	v_cmp_lt_u64_e32 vcc, s[6:7], v[1:2]
	s_cbranch_vccnz .LBB0_2
; %bb.1:
	v_cvt_f32_u32_e32 v1, s22
	s_sub_i32 s8, 0, s22
	s_mov_b32 s25, s7
	v_rcp_iflag_f32_e32 v1, v1
	v_mul_f32_e32 v1, 0x4f7ffffe, v1
	v_cvt_u32_f32_e32 v1, v1
	v_readfirstlane_b32 s9, v1
	s_mul_i32 s8, s8, s9
	s_mul_hi_u32 s8, s9, s8
	s_add_i32 s9, s9, s8
	s_mul_hi_u32 s8, s6, s9
	s_mul_i32 s10, s8, s22
	s_sub_i32 s10, s6, s10
	s_add_i32 s9, s8, 1
	s_sub_i32 s11, s10, s22
	s_cmp_ge_u32 s10, s22
	s_cselect_b32 s8, s9, s8
	s_cselect_b32 s10, s11, s10
	s_add_i32 s9, s8, 1
	s_cmp_ge_u32 s10, s22
	s_cselect_b32 s24, s9, s8
.LBB0_2:
	s_load_dwordx2 s[16:17], s[4:5], 0x58
	s_load_dwordx4 s[8:11], s[2:3], 0x0
	s_load_dwordx2 s[18:19], s[4:5], 0x0
	s_load_dwordx4 s[12:15], s[4:5], 0x8
	s_mul_i32 s4, s24, s23
	s_mul_hi_u32 s5, s24, s22
	s_add_i32 s5, s5, s4
	s_mul_i32 s4, s24, s22
	s_sub_u32 s33, s6, s4
	s_subb_u32 s4, 0, s5
	s_mul_i32 s4, s4, 6
	s_mul_hi_u32 s38, s33, 6
	s_add_i32 s38, s38, s4
	s_mul_i32 s33, s33, 6
	s_waitcnt lgkmcnt(0)
	s_mul_i32 s4, s10, s38
	s_mul_hi_u32 s5, s10, s33
	s_add_i32 s4, s5, s4
	s_mul_i32 s5, s11, s33
	s_add_i32 s39, s4, s5
	v_cmp_lt_u64_e64 s[4:5], s[14:15], 3
	s_mul_i32 s40, s10, s33
	s_and_b64 vcc, exec, s[4:5]
	s_cbranch_vccnz .LBB0_12
; %bb.3:
	s_add_u32 s4, s2, 16
	s_addc_u32 s5, s3, 0
	s_add_u32 s26, s0, 16
	v_mov_b32_e32 v1, s14
	s_addc_u32 s27, s1, 0
	s_mov_b64 s[28:29], 2
	s_mov_b32 s30, 0
	v_mov_b32_e32 v2, s15
.LBB0_4:                                ; =>This Inner Loop Header: Depth=1
	s_load_dwordx2 s[34:35], s[26:27], 0x0
	s_waitcnt lgkmcnt(0)
	s_or_b64 s[0:1], s[24:25], s[34:35]
	s_mov_b32 s31, s1
	s_cmp_lg_u64 s[30:31], 0
	s_cbranch_scc0 .LBB0_9
; %bb.5:                                ;   in Loop: Header=BB0_4 Depth=1
	v_cvt_f32_u32_e32 v3, s34
	v_cvt_f32_u32_e32 v4, s35
	s_sub_u32 s0, 0, s34
	s_subb_u32 s1, 0, s35
	v_mac_f32_e32 v3, 0x4f800000, v4
	v_rcp_f32_e32 v3, v3
	v_mul_f32_e32 v3, 0x5f7ffffc, v3
	v_mul_f32_e32 v4, 0x2f800000, v3
	v_trunc_f32_e32 v4, v4
	v_mac_f32_e32 v3, 0xcf800000, v4
	v_cvt_u32_f32_e32 v4, v4
	v_cvt_u32_f32_e32 v3, v3
	v_readfirstlane_b32 s31, v4
	v_readfirstlane_b32 s36, v3
	s_mul_i32 s37, s0, s31
	s_mul_hi_u32 s42, s0, s36
	s_mul_i32 s41, s1, s36
	s_add_i32 s37, s42, s37
	s_mul_i32 s43, s0, s36
	s_add_i32 s37, s37, s41
	s_mul_hi_u32 s41, s36, s37
	s_mul_i32 s42, s36, s37
	s_mul_hi_u32 s36, s36, s43
	s_add_u32 s36, s36, s42
	s_addc_u32 s41, 0, s41
	s_mul_hi_u32 s44, s31, s43
	s_mul_i32 s43, s31, s43
	s_add_u32 s36, s36, s43
	s_mul_hi_u32 s42, s31, s37
	s_addc_u32 s36, s41, s44
	s_addc_u32 s41, s42, 0
	s_mul_i32 s37, s31, s37
	s_add_u32 s36, s36, s37
	s_addc_u32 s37, 0, s41
	v_add_co_u32_e32 v3, vcc, s36, v3
	s_cmp_lg_u64 vcc, 0
	s_addc_u32 s31, s31, s37
	v_readfirstlane_b32 s37, v3
	s_mul_i32 s36, s0, s31
	s_mul_hi_u32 s41, s0, s37
	s_add_i32 s36, s41, s36
	s_mul_i32 s1, s1, s37
	s_add_i32 s36, s36, s1
	s_mul_i32 s0, s0, s37
	s_mul_hi_u32 s41, s31, s0
	s_mul_i32 s42, s31, s0
	s_mul_i32 s44, s37, s36
	s_mul_hi_u32 s0, s37, s0
	s_mul_hi_u32 s43, s37, s36
	s_add_u32 s0, s0, s44
	s_addc_u32 s37, 0, s43
	s_add_u32 s0, s0, s42
	s_mul_hi_u32 s1, s31, s36
	s_addc_u32 s0, s37, s41
	s_addc_u32 s1, s1, 0
	s_mul_i32 s36, s31, s36
	s_add_u32 s0, s0, s36
	s_addc_u32 s1, 0, s1
	v_add_co_u32_e32 v3, vcc, s0, v3
	s_cmp_lg_u64 vcc, 0
	s_addc_u32 s0, s31, s1
	v_readfirstlane_b32 s36, v3
	s_mul_i32 s31, s24, s0
	s_mul_hi_u32 s37, s24, s36
	s_mul_hi_u32 s1, s24, s0
	s_add_u32 s31, s37, s31
	s_addc_u32 s1, 0, s1
	s_mul_hi_u32 s41, s25, s36
	s_mul_i32 s36, s25, s36
	s_add_u32 s31, s31, s36
	s_mul_hi_u32 s37, s25, s0
	s_addc_u32 s1, s1, s41
	s_addc_u32 s31, s37, 0
	s_mul_i32 s0, s25, s0
	s_add_u32 s36, s1, s0
	s_addc_u32 s31, 0, s31
	s_mul_i32 s0, s34, s31
	s_mul_hi_u32 s1, s34, s36
	s_add_i32 s0, s1, s0
	s_mul_i32 s1, s35, s36
	s_add_i32 s37, s0, s1
	s_mul_i32 s1, s34, s36
	v_mov_b32_e32 v3, s1
	s_sub_i32 s0, s25, s37
	v_sub_co_u32_e32 v3, vcc, s24, v3
	s_cmp_lg_u64 vcc, 0
	s_subb_u32 s41, s0, s35
	v_subrev_co_u32_e64 v4, s[0:1], s34, v3
	s_cmp_lg_u64 s[0:1], 0
	s_subb_u32 s0, s41, 0
	s_cmp_ge_u32 s0, s35
	v_readfirstlane_b32 s41, v4
	s_cselect_b32 s1, -1, 0
	s_cmp_ge_u32 s41, s34
	s_cselect_b32 s41, -1, 0
	s_cmp_eq_u32 s0, s35
	s_cselect_b32 s0, s41, s1
	s_add_u32 s1, s36, 1
	s_addc_u32 s41, s31, 0
	s_add_u32 s42, s36, 2
	s_addc_u32 s43, s31, 0
	s_cmp_lg_u32 s0, 0
	s_cselect_b32 s0, s42, s1
	s_cselect_b32 s1, s43, s41
	s_cmp_lg_u64 vcc, 0
	s_subb_u32 s37, s25, s37
	s_cmp_ge_u32 s37, s35
	v_readfirstlane_b32 s42, v3
	s_cselect_b32 s41, -1, 0
	s_cmp_ge_u32 s42, s34
	s_cselect_b32 s42, -1, 0
	s_cmp_eq_u32 s37, s35
	s_cselect_b32 s37, s42, s41
	s_cmp_lg_u32 s37, 0
	s_cselect_b32 s1, s1, s31
	s_cselect_b32 s0, s0, s36
	s_cbranch_execnz .LBB0_7
.LBB0_6:                                ;   in Loop: Header=BB0_4 Depth=1
	v_cvt_f32_u32_e32 v3, s34
	s_sub_i32 s0, 0, s34
	v_rcp_iflag_f32_e32 v3, v3
	v_mul_f32_e32 v3, 0x4f7ffffe, v3
	v_cvt_u32_f32_e32 v3, v3
	v_readfirstlane_b32 s1, v3
	s_mul_i32 s0, s0, s1
	s_mul_hi_u32 s0, s1, s0
	s_add_i32 s1, s1, s0
	s_mul_hi_u32 s0, s24, s1
	s_mul_i32 s31, s0, s34
	s_sub_i32 s31, s24, s31
	s_add_i32 s1, s0, 1
	s_sub_i32 s36, s31, s34
	s_cmp_ge_u32 s31, s34
	s_cselect_b32 s0, s1, s0
	s_cselect_b32 s31, s36, s31
	s_add_i32 s1, s0, 1
	s_cmp_ge_u32 s31, s34
	s_cselect_b32 s0, s1, s0
	s_mov_b32 s1, s30
.LBB0_7:                                ;   in Loop: Header=BB0_4 Depth=1
	s_mul_i32 s23, s34, s23
	s_mul_hi_u32 s31, s34, s22
	s_add_i32 s23, s31, s23
	s_mul_i32 s31, s35, s22
	s_add_i32 s23, s23, s31
	s_mul_i32 s31, s0, s35
	s_mul_hi_u32 s35, s0, s34
	s_load_dwordx2 s[36:37], s[4:5], 0x0
	s_add_i32 s31, s35, s31
	s_mul_i32 s35, s1, s34
	s_mul_i32 s22, s34, s22
	s_add_i32 s31, s31, s35
	s_mul_i32 s34, s0, s34
	s_sub_u32 s24, s24, s34
	s_subb_u32 s25, s25, s31
	s_waitcnt lgkmcnt(0)
	s_mul_i32 s25, s36, s25
	s_mul_hi_u32 s31, s36, s24
	s_add_i32 s25, s31, s25
	s_mul_i32 s31, s37, s24
	s_add_i32 s25, s25, s31
	s_mul_i32 s24, s36, s24
	s_add_u32 s40, s24, s40
	s_addc_u32 s39, s25, s39
	s_add_u32 s28, s28, 1
	s_addc_u32 s29, s29, 0
	;; [unrolled: 2-line block ×3, first 2 shown]
	v_cmp_ge_u64_e32 vcc, s[28:29], v[1:2]
	s_add_u32 s26, s26, 8
	s_addc_u32 s27, s27, 0
	s_cbranch_vccnz .LBB0_10
; %bb.8:                                ;   in Loop: Header=BB0_4 Depth=1
	s_mov_b64 s[24:25], s[0:1]
	s_branch .LBB0_4
.LBB0_9:                                ;   in Loop: Header=BB0_4 Depth=1
                                        ; implicit-def: $sgpr0_sgpr1
	s_branch .LBB0_6
.LBB0_10:
	v_mov_b32_e32 v1, s22
	v_mov_b32_e32 v2, s23
	v_cmp_lt_u64_e32 vcc, s[6:7], v[1:2]
	s_mov_b64 s[24:25], 0
	s_cbranch_vccnz .LBB0_12
; %bb.11:
	v_cvt_f32_u32_e32 v1, s22
	s_sub_i32 s0, 0, s22
	v_rcp_iflag_f32_e32 v1, v1
	v_mul_f32_e32 v1, 0x4f7ffffe, v1
	v_cvt_u32_f32_e32 v1, v1
	v_readfirstlane_b32 s1, v1
	s_mul_i32 s0, s0, s1
	s_mul_hi_u32 s0, s1, s0
	s_add_i32 s1, s1, s0
	s_mul_hi_u32 s0, s6, s1
	s_mul_i32 s4, s0, s22
	s_sub_i32 s4, s6, s4
	s_add_i32 s1, s0, 1
	s_sub_i32 s5, s4, s22
	s_cmp_ge_u32 s4, s22
	s_cselect_b32 s0, s1, s0
	s_cselect_b32 s4, s5, s4
	s_add_i32 s1, s0, 1
	s_cmp_ge_u32 s4, s22
	s_cselect_b32 s24, s1, s0
.LBB0_12:
	s_lshl_b64 s[0:1], s[14:15], 3
	s_add_u32 s0, s2, s0
	s_addc_u32 s1, s3, s1
	s_load_dwordx2 s[0:1], s[0:1], 0x0
	v_mov_b32_e32 v1, s20
	v_mul_u32_u24_e32 v3, 0x2aab, v0
	v_mov_b32_e32 v2, s21
	v_lshrrev_b32_e32 v42, 16, v3
	s_waitcnt lgkmcnt(0)
	s_mul_i32 s1, s1, s24
	s_mul_hi_u32 s2, s0, s24
	s_mul_i32 s0, s0, s24
	s_add_i32 s1, s2, s1
	s_add_u32 s2, s0, s40
	s_addc_u32 s3, s1, s39
	s_add_u32 s0, s33, 6
	s_addc_u32 s1, s38, 0
	v_cmp_le_u64_e32 vcc, s[0:1], v[1:2]
	v_mul_lo_u16_e32 v1, 6, v42
	v_sub_u16_e32 v44, v0, v1
	v_mov_b32_e32 v2, s38
	v_add_co_u32_e64 v1, s[0:1], s33, v44
	v_addc_co_u32_e64 v2, s[0:1], 0, v2, s[0:1]
	v_cmp_gt_u64_e64 s[0:1], s[20:21], v[1:2]
	v_lshlrev_b32_e32 v45, 4, v42
	s_or_b64 s[4:5], vcc, s[0:1]
	v_add_u32_e32 v43, 42, v42
	s_and_saveexec_b64 s[0:1], s[4:5]
	s_cbranch_execz .LBB0_14
; %bb.13:
	v_mad_u64_u32 v[1:2], s[6:7], s10, v44, 0
	v_mad_u64_u32 v[3:4], s[6:7], s8, v42, 0
	v_mad_u64_u32 v[5:6], s[6:7], s11, v44, v[2:3]
	v_mov_b32_e32 v2, v4
	v_mad_u64_u32 v[6:7], s[6:7], s9, v42, v[2:3]
	s_lshl_b64 s[6:7], s[2:3], 4
	s_add_u32 s14, s16, s6
	s_addc_u32 s6, s17, s7
	v_mov_b32_e32 v2, v5
	v_mov_b32_e32 v4, v6
	;; [unrolled: 1-line block ×3, first 2 shown]
	v_mad_u64_u32 v[5:6], s[6:7], s8, v43, 0
	v_lshlrev_b64 v[1:2], 4, v[1:2]
	v_add_co_u32_e32 v12, vcc, s14, v1
	v_addc_co_u32_e32 v13, vcc, v7, v2, vcc
	v_lshlrev_b64 v[1:2], 4, v[3:4]
	v_mov_b32_e32 v3, v6
	v_mad_u64_u32 v[3:4], s[6:7], s9, v43, v[3:4]
	v_add_co_u32_e32 v17, vcc, v12, v1
	v_add_u32_e32 v4, 0x54, v42
	v_addc_co_u32_e32 v18, vcc, v13, v2, vcc
	v_mad_u64_u32 v[1:2], s[6:7], s8, v4, 0
	v_add_u32_e32 v6, 0x7e, v42
	v_mad_u64_u32 v[7:8], s[6:7], s8, v6, 0
	v_mad_u64_u32 v[9:10], s[6:7], s9, v4, v[2:3]
	v_mov_b32_e32 v2, v8
	v_mad_u64_u32 v[10:11], s[6:7], s9, v6, v[2:3]
	v_mov_b32_e32 v6, v3
	v_lshlrev_b64 v[3:4], 4, v[5:6]
	v_mov_b32_e32 v2, v9
	v_lshlrev_b64 v[1:2], 4, v[1:2]
	v_add_co_u32_e32 v19, vcc, v12, v3
	v_mov_b32_e32 v8, v10
	v_addc_co_u32_e32 v20, vcc, v13, v4, vcc
	v_lshlrev_b64 v[5:6], 4, v[7:8]
	v_add_co_u32_e32 v21, vcc, v12, v1
	v_addc_co_u32_e32 v22, vcc, v13, v2, vcc
	v_add_co_u32_e32 v23, vcc, v12, v5
	v_addc_co_u32_e32 v24, vcc, v13, v6, vcc
	global_load_dwordx4 v[1:4], v[17:18], off
	global_load_dwordx4 v[5:8], v[19:20], off
	;; [unrolled: 1-line block ×4, first 2 shown]
	v_mul_u32_u24_e32 v17, 0xa80, v44
	v_add3_u32 v17, 0, v17, v45
	s_waitcnt vmcnt(3)
	ds_write_b128 v17, v[1:4]
	s_waitcnt vmcnt(2)
	ds_write_b128 v17, v[5:8] offset:672
	s_waitcnt vmcnt(1)
	ds_write_b128 v17, v[9:12] offset:1344
	;; [unrolled: 2-line block ×3, first 2 shown]
.LBB0_14:
	s_or_b64 exec, exec, s[0:1]
	s_movk_i32 s0, 0x619
	v_mul_u32_u24_sdwa v1, v0, s0 dst_sel:DWORD dst_unused:UNUSED_PAD src0_sel:WORD_0 src1_sel:DWORD
	s_add_u32 s0, 0, 0xaaa80000
	s_addc_u32 s1, 0, 0xaa
	s_add_i32 s1, s1, 0x2aaaaa00
	s_mul_hi_u32 s15, s0, -6
	s_sub_i32 s15, s15, s0
	s_mul_i32 s20, s1, -6
	s_mul_i32 s6, s0, -6
	s_add_i32 s15, s15, s20
	s_mul_hi_u32 s7, s1, s6
	s_mul_i32 s14, s1, s6
	s_mul_i32 s21, s0, s15
	s_mul_hi_u32 s6, s0, s6
	s_mul_hi_u32 s20, s0, s15
	s_add_u32 s6, s6, s21
	s_addc_u32 s20, 0, s20
	s_add_u32 s6, s6, s14
	s_mul_hi_u32 s21, s1, s15
	s_addc_u32 s6, s20, s7
	s_addc_u32 s7, s21, 0
	s_mul_i32 s14, s1, s15
	s_add_u32 s6, s6, s14
	v_mov_b32_e32 v2, s6
	s_addc_u32 s7, 0, s7
	v_add_co_u32_e32 v3, vcc, s0, v2
	v_lshrrev_b32_e32 v5, 16, v1
	s_cmp_lg_u64 vcc, 0
	v_mov_b32_e32 v1, s38
	s_addc_u32 s6, s1, s7
	v_add_co_u32_e32 v47, vcc, s33, v5
	v_addc_co_u32_e32 v6, vcc, 0, v1, vcc
	v_mad_u64_u32 v[1:2], s[0:1], v47, s6, 0
	v_mul_hi_u32 v4, v47, v3
	s_waitcnt lgkmcnt(0)
	s_barrier
	v_add_co_u32_e32 v7, vcc, v4, v1
	v_addc_co_u32_e32 v8, vcc, 0, v2, vcc
	v_mad_u64_u32 v[1:2], s[0:1], v6, v3, 0
	v_mad_u64_u32 v[3:4], s[0:1], v6, s6, 0
	v_add_co_u32_e32 v1, vcc, v7, v1
	v_addc_co_u32_e32 v1, vcc, v8, v2, vcc
	v_addc_co_u32_e32 v2, vcc, 0, v4, vcc
	v_add_co_u32_e32 v1, vcc, v1, v3
	v_addc_co_u32_e32 v3, vcc, 0, v2, vcc
	v_mad_u64_u32 v[1:2], s[0:1], v1, 6, 0
	s_mov_b32 s6, 0x37e14327
	s_mov_b32 s7, 0x3fe948f6
	v_mad_u64_u32 v[2:3], s[0:1], v3, 6, v[2:3]
	v_sub_co_u32_e32 v1, vcc, v47, v1
	v_subb_co_u32_e32 v2, vcc, v6, v2, vcc
	v_subrev_co_u32_e32 v3, vcc, 6, v1
	v_subbrev_co_u32_e32 v4, vcc, 0, v2, vcc
	v_cmp_lt_u32_e32 vcc, 5, v3
	v_cndmask_b32_e64 v6, 0, -1, vcc
	v_cmp_eq_u32_e32 vcc, 0, v4
	v_cndmask_b32_e32 v4, -1, v6, vcc
	v_add_u32_e32 v6, -6, v3
	v_cmp_ne_u32_e32 vcc, 0, v4
	v_cndmask_b32_e32 v3, v3, v6, vcc
	v_cmp_lt_u32_e32 vcc, 5, v1
	v_cndmask_b32_e64 v4, 0, -1, vcc
	v_cmp_eq_u32_e32 vcc, 0, v2
	v_cndmask_b32_e32 v2, -1, v4, vcc
	v_cmp_ne_u32_e32 vcc, 0, v2
	v_cndmask_b32_e32 v1, v1, v3, vcc
	v_mul_u32_u24_e32 v49, 0xa8, v1
	v_mul_lo_u16_e32 v1, 42, v5
	v_sub_u16_e32 v48, v0, v1
	v_lshlrev_b32_e32 v56, 4, v48
	v_lshlrev_b32_e32 v55, 4, v49
	v_add_u32_e32 v50, 0, v56
	v_add_u32_e32 v46, v50, v55
	ds_read_b128 v[0:3], v46 offset:384
	ds_read_b128 v[4:7], v46 offset:768
	ds_read_b128 v[8:11], v46 offset:2304
	ds_read_b128 v[12:15], v46 offset:1920
	ds_read_b128 v[16:19], v46 offset:1152
	ds_read_b128 v[20:23], v46 offset:1536
	s_mov_b32 s0, 0x36b3c0b5
	s_mov_b32 s1, 0x3fac98ee
	s_waitcnt lgkmcnt(3)
	v_add_f64 v[24:25], v[0:1], v[8:9]
	s_waitcnt lgkmcnt(2)
	v_add_f64 v[26:27], v[4:5], v[12:13]
	;; [unrolled: 2-line block ×3, first 2 shown]
	v_add_f64 v[32:33], v[6:7], -v[14:15]
	v_add_f64 v[34:35], v[22:23], -v[18:19]
	;; [unrolled: 1-line block ×3, first 2 shown]
	s_mov_b32 s15, 0xbfd5d0dc
	s_mov_b32 s20, 0xaaaaaaaa
	s_mov_b32 s14, 0xb247c609
	v_add_f64 v[30:31], v[26:27], v[24:25]
	v_add_f64 v[40:41], v[28:29], -v[26:27]
	v_add_f64 v[38:39], v[26:27], -v[24:25]
	;; [unrolled: 1-line block ×3, first 2 shown]
	v_add_f64 v[26:27], v[34:35], v[32:33]
	s_mov_b32 s21, 0xbff2aaaa
	v_lshlrev_b32_e32 v49, 3, v49
	v_add_f64 v[28:29], v[28:29], v[30:31]
	v_mul_f64 v[51:52], v[40:41], s[0:1]
	v_add_f64 v[30:31], v[34:35], -v[32:33]
	v_mul_f64 v[53:54], v[24:25], s[6:7]
	v_add_f64 v[32:33], v[32:33], -v[36:37]
	s_mov_b32 s7, 0x3fe77f67
	s_mov_b32 s6, 0x5476071b
	v_add3_u32 v24, 0, v55, v56
	v_add_f64 v[34:35], v[36:37], -v[34:35]
	v_add_f64 v[36:37], v[26:27], v[36:37]
	v_fma_f64 v[51:52], v[38:39], s[6:7], -v[51:52]
	ds_read_b128 v[24:27], v24
	s_mov_b32 s7, 0xbfe77f67
	v_fma_f64 v[38:39], v[38:39], s[6:7], -v[53:54]
	s_mov_b32 s6, 0xe976ee23
	s_mov_b32 s7, 0x3fe11646
	v_mul_f64 v[30:31], v[30:31], s[6:7]
	s_mov_b32 s6, 0x429ad128
	s_mov_b32 s7, 0xbfebfeb5
	s_waitcnt lgkmcnt(0)
	v_add_f64 v[24:25], v[24:25], v[28:29]
	v_mul_f64 v[55:56], v[32:33], s[6:7]
	v_fma_f64 v[40:41], v[40:41], s[0:1], v[53:54]
	s_mov_b32 s0, 0x37c3f68c
	s_mov_b32 s1, 0xbfdc38aa
	v_fma_f64 v[32:33], v[32:33], s[6:7], -v[30:31]
	v_fma_f64 v[30:31], v[34:35], s[14:15], v[30:31]
	s_mov_b32 s15, 0x3fd5d0dc
	v_fma_f64 v[28:29], v[28:29], s[20:21], v[24:25]
	v_fma_f64 v[34:35], v[34:35], s[14:15], -v[55:56]
	v_fma_f64 v[32:33], v[36:37], s[0:1], v[32:33]
	v_add_f64 v[51:52], v[51:52], v[28:29]
	v_add_f64 v[53:54], v[38:39], v[28:29]
	v_fma_f64 v[34:35], v[36:37], s[0:1], v[34:35]
	v_add_f64 v[38:39], v[40:41], v[28:29]
	v_fma_f64 v[40:41], v[36:37], s[0:1], v[30:31]
	v_cmp_gt_u16_e64 s[0:1], 24, v48
	v_add_f64 v[36:37], v[51:52], -v[32:33]
	v_add_f64 v[28:29], v[51:52], v[32:33]
	v_add_f64 v[30:31], v[53:54], v[34:35]
	v_add_f64 v[34:35], v[53:54], -v[34:35]
	v_add_f64 v[32:33], v[38:39], v[40:41]
	s_and_saveexec_b64 s[6:7], s[0:1]
	s_cbranch_execz .LBB0_16
; %bb.15:
	v_add_f64 v[38:39], v[38:39], -v[40:41]
	v_mul_u32_u24_e32 v40, 40, v48
	v_add3_u32 v40, v50, v40, v49
	ds_write2_b64 v40, v[24:25], v[32:33] offset1:1
	ds_write2_b64 v40, v[30:31], v[36:37] offset0:2 offset1:3
	ds_write2_b64 v40, v[28:29], v[34:35] offset0:4 offset1:5
	ds_write_b64 v40, v[38:39] offset:48
.LBB0_16:
	s_or_b64 exec, exec, s[6:7]
	v_cmp_gt_u16_e32 vcc, 28, v48
	v_lshlrev_b32_e32 v38, 3, v48
	s_waitcnt lgkmcnt(0)
	s_barrier
	s_and_saveexec_b64 s[6:7], vcc
	s_cbranch_execz .LBB0_18
; %bb.17:
	v_add3_u32 v32, 0, v38, v49
	ds_read2_b64 v[28:31], v32 offset0:28 offset1:56
	v_add3_u32 v24, 0, v49, v38
	ds_read2_b64 v[50:53], v32 offset0:84 offset1:112
	ds_read_b64 v[24:25], v24
	ds_read_b64 v[34:35], v32 offset:1120
	s_waitcnt lgkmcnt(2)
	v_mov_b32_e32 v36, v50
	v_mov_b32_e32 v33, v29
	;; [unrolled: 1-line block ×6, first 2 shown]
.LBB0_18:
	s_or_b64 exec, exec, s[6:7]
	v_add_f64 v[2:3], v[2:3], v[10:11]
	v_add_f64 v[6:7], v[6:7], v[14:15]
	v_add_f64 v[0:1], v[0:1], -v[8:9]
	v_add_f64 v[8:9], v[18:19], v[22:23]
	v_add_f64 v[4:5], v[4:5], -v[12:13]
	v_add_f64 v[10:11], v[20:21], -v[16:17]
	s_mov_b32 s14, 0x36b3c0b5
	s_mov_b32 s6, 0x37e14327
	;; [unrolled: 1-line block ×3, first 2 shown]
	v_add_f64 v[12:13], v[6:7], v[2:3]
	s_mov_b32 s7, 0x3fe948f6
	v_add_f64 v[16:17], v[8:9], -v[6:7]
	v_add_f64 v[14:15], v[2:3], -v[8:9]
	v_add_f64 v[18:19], v[10:11], v[4:5]
	v_add_f64 v[20:21], v[10:11], -v[4:5]
	v_add_f64 v[4:5], v[4:5], -v[0:1]
	s_mov_b32 s20, 0xe976ee23
	v_add_f64 v[12:13], v[8:9], v[12:13]
	v_add_f64 v[2:3], v[6:7], -v[2:3]
	v_add_f64 v[6:7], v[0:1], -v[10:11]
	v_mul_f64 v[10:11], v[16:17], s[14:15]
	s_mov_b32 s21, 0x3fe11646
	s_mov_b32 s22, 0x429ad128
	v_mul_f64 v[14:15], v[14:15], s[6:7]
	s_mov_b32 s23, 0xbfebfeb5
	v_add_f64 v[0:1], v[18:19], v[0:1]
	v_mul_f64 v[18:19], v[20:21], s[20:21]
	v_add_f64 v[8:9], v[26:27], v[12:13]
	v_mul_f64 v[20:21], v[4:5], s[22:23]
	s_mov_b32 s7, 0x3fe77f67
	s_mov_b32 s6, 0x5476071b
	v_fma_f64 v[10:11], v[2:3], s[6:7], -v[10:11]
	s_mov_b32 s7, 0xbfe77f67
	s_mov_b32 s24, 0xaaaaaaaa
	v_fma_f64 v[2:3], v[2:3], s[6:7], -v[14:15]
	s_mov_b32 s7, 0xbfd5d0dc
	s_mov_b32 s6, 0xb247c609
	;; [unrolled: 1-line block ×3, first 2 shown]
	v_fma_f64 v[16:17], v[16:17], s[14:15], v[14:15]
	v_fma_f64 v[14:15], v[6:7], s[6:7], v[18:19]
	s_mov_b32 s7, 0x3fd5d0dc
	v_fma_f64 v[22:23], v[12:13], s[24:25], v[8:9]
	v_fma_f64 v[6:7], v[6:7], s[6:7], -v[20:21]
	v_fma_f64 v[4:5], v[4:5], s[22:23], -v[18:19]
	s_mov_b32 s6, 0x37c3f68c
	s_mov_b32 s7, 0xbfdc38aa
	s_waitcnt lgkmcnt(0)
	v_fma_f64 v[14:15], v[0:1], s[6:7], v[14:15]
	s_barrier
	v_add_f64 v[12:13], v[16:17], v[22:23]
	v_add_f64 v[16:17], v[10:11], v[22:23]
	;; [unrolled: 1-line block ×3, first 2 shown]
	v_fma_f64 v[6:7], v[0:1], s[6:7], v[6:7]
	v_fma_f64 v[0:1], v[0:1], s[6:7], v[4:5]
	v_add_f64 v[4:5], v[12:13], -v[14:15]
	v_add_f64 v[2:3], v[18:19], -v[6:7]
	v_add_f64 v[10:11], v[0:1], v[16:17]
	v_add_f64 v[0:1], v[16:17], -v[0:1]
	v_add_f64 v[6:7], v[6:7], v[18:19]
	s_and_saveexec_b64 s[6:7], s[0:1]
	s_cbranch_execz .LBB0_20
; %bb.19:
	v_add_f64 v[12:13], v[14:15], v[12:13]
	v_mul_u32_u24_e32 v14, 56, v48
	v_add3_u32 v14, 0, v14, v49
	ds_write2_b64 v14, v[8:9], v[4:5] offset1:1
	ds_write2_b64 v14, v[2:3], v[10:11] offset0:2 offset1:3
	ds_write2_b64 v14, v[0:1], v[6:7] offset0:4 offset1:5
	ds_write_b64 v14, v[12:13] offset:48
.LBB0_20:
	s_or_b64 exec, exec, s[6:7]
	s_waitcnt lgkmcnt(0)
	s_barrier
	s_and_saveexec_b64 s[0:1], vcc
	s_cbranch_execz .LBB0_22
; %bb.21:
	v_add3_u32 v0, 0, v38, v49
	ds_read2_b64 v[2:5], v0 offset0:84 offset1:112
	v_add3_u32 v1, 0, v49, v38
	ds_read2_b64 v[12:15], v0 offset0:28 offset1:56
	ds_read_b64 v[8:9], v1
	ds_read_b64 v[6:7], v0 offset:1120
	s_waitcnt lgkmcnt(3)
	v_mov_b32_e32 v0, v4
	v_mov_b32_e32 v11, v3
	;; [unrolled: 1-line block ×4, first 2 shown]
	s_waitcnt lgkmcnt(2)
	v_mov_b32_e32 v2, v14
	v_mov_b32_e32 v4, v12
	;; [unrolled: 1-line block ×4, first 2 shown]
.LBB0_22:
	s_or_b64 exec, exec, s[0:1]
	v_mov_b32_e32 v12, 37
	v_mul_lo_u16_sdwa v12, v48, v12 dst_sel:DWORD dst_unused:UNUSED_PAD src0_sel:BYTE_0 src1_sel:DWORD
	v_sub_u16_sdwa v13, v48, v12 dst_sel:DWORD dst_unused:UNUSED_PAD src0_sel:DWORD src1_sel:BYTE_1
	v_lshrrev_b16_e32 v13, 1, v13
	v_and_b32_e32 v13, 0x7f, v13
	v_add_u16_sdwa v12, v13, v12 dst_sel:DWORD dst_unused:UNUSED_PAD src0_sel:DWORD src1_sel:BYTE_1
	v_lshrrev_b16_e32 v39, 2, v12
	v_mul_lo_u16_e32 v12, 7, v39
	v_sub_u16_e32 v40, v48, v12
	v_mov_b32_e32 v12, 5
	v_mul_u32_u24_sdwa v12, v40, v12 dst_sel:DWORD dst_unused:UNUSED_PAD src0_sel:BYTE_0 src1_sel:DWORD
	v_lshlrev_b32_e32 v26, 4, v12
	global_load_dwordx4 v[12:15], v26, s[18:19] offset:32
	global_load_dwordx4 v[16:19], v26, s[18:19] offset:64
	global_load_dwordx4 v[20:23], v26, s[18:19]
	global_load_dwordx4 v[50:53], v26, s[18:19] offset:16
	global_load_dwordx4 v[54:57], v26, s[18:19] offset:48
	s_mov_b32 s0, 0xe8584caa
	s_mov_b32 s1, 0xbfebb67a
	;; [unrolled: 1-line block ×4, first 2 shown]
	s_waitcnt vmcnt(0) lgkmcnt(0)
	s_barrier
	v_mul_f64 v[26:27], v[10:11], v[14:15]
	v_mul_f64 v[58:59], v[6:7], v[18:19]
	;; [unrolled: 1-line block ×6, first 2 shown]
	v_fma_f64 v[36:37], v[36:37], v[12:13], v[26:27]
	v_fma_f64 v[34:35], v[34:35], v[16:17], v[58:59]
	v_fma_f64 v[12:13], v[10:11], v[12:13], -v[14:15]
	v_fma_f64 v[10:11], v[6:7], v[16:17], -v[18:19]
	v_fma_f64 v[6:7], v[32:33], v[20:21], v[60:61]
	v_fma_f64 v[14:15], v[4:5], v[20:21], -v[22:23]
	v_mul_f64 v[18:19], v[2:3], v[52:53]
	v_mul_f64 v[20:21], v[30:31], v[52:53]
	;; [unrolled: 1-line block ×3, first 2 shown]
	v_add_f64 v[16:17], v[36:37], v[34:35]
	v_mul_f64 v[26:27], v[28:29], v[56:57]
	v_add_f64 v[4:5], v[12:13], v[10:11]
	v_add_f64 v[52:53], v[12:13], -v[10:11]
	v_add_f64 v[58:59], v[36:37], -v[34:35]
	v_fma_f64 v[30:31], v[30:31], v[50:51], v[18:19]
	v_fma_f64 v[32:33], v[2:3], v[50:51], -v[20:21]
	v_fma_f64 v[28:29], v[28:29], v[54:55], v[22:23]
	v_fma_f64 v[56:57], v[16:17], -0.5, v[6:7]
	v_fma_f64 v[20:21], v[0:1], v[54:55], -v[26:27]
	v_fma_f64 v[4:5], v[4:5], -0.5, v[14:15]
	v_fma_f64 v[16:17], v[52:53], s[0:1], v[56:57]
	v_fma_f64 v[18:19], v[52:53], s[6:7], v[56:57]
	;; [unrolled: 1-line block ×4, first 2 shown]
	s_and_saveexec_b64 s[14:15], vcc
	s_cbranch_execz .LBB0_24
; %bb.23:
	v_add_f64 v[0:1], v[30:31], v[28:29]
	v_add_f64 v[2:3], v[32:33], -v[20:21]
	v_add_f64 v[50:51], v[24:25], v[30:31]
	v_add_f64 v[6:7], v[6:7], v[36:37]
	v_mul_f64 v[36:37], v[26:27], s[0:1]
	v_mul_f64 v[4:5], v[22:23], s[0:1]
	v_fma_f64 v[0:1], v[0:1], -0.5, v[24:25]
	v_add_f64 v[24:25], v[50:51], v[28:29]
	v_add_f64 v[6:7], v[6:7], v[34:35]
	v_fma_f64 v[34:35], v[16:17], 0.5, v[36:37]
	v_fma_f64 v[4:5], v[18:19], -0.5, v[4:5]
	v_fma_f64 v[36:37], v[2:3], s[6:7], v[0:1]
	v_fma_f64 v[0:1], v[2:3], s[0:1], v[0:1]
	s_movk_i32 s0, 0x150
	v_add_f64 v[2:3], v[24:25], -v[6:7]
	v_add_f64 v[6:7], v[24:25], v[6:7]
	v_add_f64 v[24:25], v[36:37], -v[4:5]
	v_add_f64 v[50:51], v[0:1], v[34:35]
	v_add_f64 v[4:5], v[36:37], v[4:5]
	v_add_f64 v[0:1], v[0:1], -v[34:35]
	v_mov_b32_e32 v34, 3
	v_mad_u32_u24 v35, v39, s0, 0
	v_lshlrev_b32_sdwa v34, v34, v40 dst_sel:DWORD dst_unused:UNUSED_PAD src0_sel:DWORD src1_sel:BYTE_0
	v_add3_u32 v34, v35, v34, v49
	ds_write2_b64 v34, v[6:7], v[50:51] offset1:7
	ds_write2_b64 v34, v[4:5], v[2:3] offset0:14 offset1:21
	ds_write2_b64 v34, v[0:1], v[24:25] offset0:28 offset1:35
.LBB0_24:
	s_or_b64 exec, exec, s[14:15]
	v_add3_u32 v25, 0, v38, v49
	s_waitcnt lgkmcnt(0)
	s_barrier
	v_add3_u32 v24, 0, v49, v38
	ds_read2_b64 v[0:3], v25 offset0:42 offset1:84
	ds_read_b64 v[4:5], v24
	ds_read_b64 v[6:7], v25 offset:1008
	s_waitcnt lgkmcnt(0)
	s_barrier
	s_and_saveexec_b64 s[0:1], vcc
	s_cbranch_execz .LBB0_26
; %bb.25:
	v_add_f64 v[34:35], v[32:33], v[20:21]
	v_add_f64 v[32:33], v[8:9], v[32:33]
	v_add_f64 v[28:29], v[30:31], -v[28:29]
	v_add_f64 v[12:13], v[14:15], v[12:13]
	v_mul_f64 v[14:15], v[26:27], 0.5
	v_mul_f64 v[22:23], v[22:23], -0.5
	s_mov_b32 s6, 0xe8584caa
	s_mov_b32 s7, 0x3febb67a
	v_fma_f64 v[8:9], v[34:35], -0.5, v[8:9]
	s_mov_b32 s15, 0xbfebb67a
	s_mov_b32 s14, s6
	v_add_f64 v[20:21], v[32:33], v[20:21]
	v_add_f64 v[10:11], v[12:13], v[10:11]
	v_fma_f64 v[12:13], v[16:17], s[6:7], v[14:15]
	v_fma_f64 v[14:15], v[18:19], s[6:7], v[22:23]
	;; [unrolled: 1-line block ×4, first 2 shown]
	s_movk_i32 s6, 0x150
	v_add_f64 v[18:19], v[20:21], v[10:11]
	v_add_f64 v[10:11], v[20:21], -v[10:11]
	v_add_f64 v[20:21], v[16:17], v[12:13]
	v_add_f64 v[22:23], v[8:9], v[14:15]
	v_add_f64 v[12:13], v[16:17], -v[12:13]
	v_add_f64 v[8:9], v[8:9], -v[14:15]
	v_mov_b32_e32 v14, 3
	v_mad_u32_u24 v15, v39, s6, 0
	v_lshlrev_b32_sdwa v14, v14, v40 dst_sel:DWORD dst_unused:UNUSED_PAD src0_sel:DWORD src1_sel:BYTE_0
	v_add3_u32 v14, v15, v14, v49
	ds_write2_b64 v14, v[18:19], v[20:21] offset1:7
	ds_write2_b64 v14, v[22:23], v[10:11] offset0:14 offset1:21
	ds_write2_b64 v14, v[12:13], v[8:9] offset0:28 offset1:35
.LBB0_26:
	s_or_b64 exec, exec, s[0:1]
	v_mul_u32_u24_e32 v8, 3, v48
	v_lshlrev_b32_e32 v55, 4, v8
	s_waitcnt lgkmcnt(0)
	s_barrier
	global_load_dwordx4 v[8:11], v55, s[18:19] offset:560
	global_load_dwordx4 v[12:15], v55, s[18:19] offset:576
	v_mul_lo_u32 v59, v47, v48
	v_mov_b32_e32 v57, 4
	v_mov_b32_e32 v58, 0x1000
	v_add_u32_e32 v34, 0x54, v48
	v_lshlrev_b32_sdwa v26, v57, v59 dst_sel:DWORD dst_unused:UNUSED_PAD src0_sel:DWORD src1_sel:BYTE_0
	v_bfe_u32 v16, v59, 8, 8
	v_lshl_or_b32 v27, v16, 4, v58
	global_load_dwordx4 v[16:19], v26, s[12:13]
	global_load_dwordx4 v[20:23], v27, s[12:13]
	v_add_u32_e32 v26, 42, v48
	v_mul_lo_u32 v56, v47, v26
	v_mul_lo_u32 v63, v47, v34
	v_mov_b32_e32 v64, 0x2000
	v_bfe_u32 v30, v56, 8, 8
	v_lshlrev_b32_sdwa v26, v57, v56 dst_sel:DWORD dst_unused:UNUSED_PAD src0_sel:DWORD src1_sel:BYTE_0
	v_lshl_or_b32 v30, v30, 4, v58
	global_load_dwordx4 v[26:29], v26, s[12:13]
	v_lshlrev_b32_sdwa v49, v57, v63 dst_sel:DWORD dst_unused:UNUSED_PAD src0_sel:DWORD src1_sel:BYTE_0
	global_load_dwordx4 v[30:33], v30, s[12:13]
	v_bfe_u32 v34, v63, 8, 8
	v_lshl_or_b32 v50, v34, 4, v58
	global_load_dwordx4 v[34:37], v49, s[12:13]
	global_load_dwordx4 v[38:41], v50, s[12:13]
	ds_read2_b64 v[49:52], v25 offset0:42 offset1:84
	s_waitcnt vmcnt(7) lgkmcnt(0)
	v_mul_f64 v[53:54], v[49:50], v[10:11]
	v_mul_f64 v[10:11], v[0:1], v[10:11]
	v_fma_f64 v[53:54], v[0:1], v[8:9], v[53:54]
	s_waitcnt vmcnt(6)
	v_mul_f64 v[0:1], v[51:52], v[14:15]
	v_fma_f64 v[49:50], v[49:50], v[8:9], -v[10:11]
	v_mul_f64 v[8:9], v[2:3], v[14:15]
	v_add_u32_e32 v10, 0x7e, v48
	v_mul_lo_u32 v65, v47, v10
	v_bfe_u32 v10, v56, 16, 8
	v_lshl_or_b32 v60, v10, 4, v64
	v_fma_f64 v[47:48], v[2:3], v[12:13], v[0:1]
	global_load_dwordx4 v[0:3], v55, s[18:19] offset:592
	s_waitcnt vmcnt(5)
	v_mul_f64 v[55:56], v[18:19], v[22:23]
	v_mul_f64 v[22:23], v[16:17], v[22:23]
	v_fma_f64 v[51:52], v[51:52], v[12:13], -v[8:9]
	v_bfe_u32 v8, v65, 8, 8
	v_lshlrev_b32_sdwa v57, v57, v65 dst_sel:DWORD dst_unused:UNUSED_PAD src0_sel:DWORD src1_sel:BYTE_0
	v_lshl_or_b32 v58, v8, 4, v58
	global_load_dwordx4 v[8:11], v57, s[12:13]
	global_load_dwordx4 v[12:15], v58, s[12:13]
	v_fma_f64 v[55:56], v[16:17], v[20:21], -v[55:56]
	v_fma_f64 v[57:58], v[18:19], v[20:21], v[22:23]
	s_waitcnt vmcnt(5)
	v_mul_f64 v[20:21], v[28:29], v[32:33]
	v_mul_f64 v[22:23], v[26:27], v[32:33]
	v_bfe_u32 v32, v59, 16, 8
	v_lshl_or_b32 v32, v32, 4, v64
	global_load_dwordx4 v[16:19], v60, s[12:13]
	v_fma_f64 v[59:60], v[26:27], v[30:31], -v[20:21]
	v_fma_f64 v[61:62], v[28:29], v[30:31], v[22:23]
	global_load_dwordx4 v[20:23], v32, s[12:13]
	v_bfe_u32 v26, v63, 16, 8
	v_bfe_u32 v27, v65, 16, 8
	v_lshl_or_b32 v26, v26, 4, v64
	v_lshl_or_b32 v63, v27, 4, v64
	global_load_dwordx4 v[26:29], v26, s[12:13]
	s_waitcnt vmcnt(6)
	v_mul_f64 v[30:31], v[36:37], v[40:41]
	v_mul_f64 v[32:33], v[34:35], v[40:41]
	v_fma_f64 v[34:35], v[34:35], v[38:39], -v[30:31]
	v_fma_f64 v[36:37], v[36:37], v[38:39], v[32:33]
	global_load_dwordx4 v[30:33], v63, s[12:13]
	ds_read_b64 v[38:39], v25 offset:1008
	s_waitcnt vmcnt(6) lgkmcnt(0)
	v_mul_f64 v[40:41], v[38:39], v[2:3]
	v_mul_f64 v[2:3], v[6:7], v[2:3]
	v_fma_f64 v[6:7], v[6:7], v[0:1], v[40:41]
	s_waitcnt vmcnt(4)
	v_mul_f64 v[40:41], v[10:11], v[14:15]
	v_fma_f64 v[0:1], v[38:39], v[0:1], -v[2:3]
	v_mul_f64 v[2:3], v[8:9], v[14:15]
	ds_read_b64 v[14:15], v24
	s_waitcnt vmcnt(0) lgkmcnt(0)
	s_barrier
	v_mul_f64 v[38:39], v[61:62], v[18:19]
	v_add_f64 v[6:7], v[53:54], -v[6:7]
	v_fma_f64 v[8:9], v[8:9], v[12:13], -v[40:41]
	v_add_f64 v[24:25], v[14:15], -v[51:52]
	v_fma_f64 v[2:3], v[10:11], v[12:13], v[2:3]
	v_add_f64 v[10:11], v[4:5], -v[47:48]
	v_mul_f64 v[12:13], v[57:58], v[22:23]
	v_add_f64 v[0:1], v[49:50], -v[0:1]
	v_mul_f64 v[22:23], v[55:56], v[22:23]
	v_mul_f64 v[18:19], v[59:60], v[18:19]
	v_fma_f64 v[38:39], v[16:17], v[59:60], -v[38:39]
	v_mul_f64 v[40:41], v[36:37], v[28:29]
	v_fma_f64 v[14:15], v[14:15], 2.0, -v[24:25]
	v_fma_f64 v[4:5], v[4:5], 2.0, -v[10:11]
	v_fma_f64 v[47:48], v[20:21], v[55:56], -v[12:13]
	v_mul_f64 v[12:13], v[34:35], v[28:29]
	v_fma_f64 v[28:29], v[53:54], 2.0, -v[6:7]
	v_fma_f64 v[49:50], v[49:50], 2.0, -v[0:1]
	v_fma_f64 v[20:21], v[20:21], v[57:58], v[22:23]
	v_add_f64 v[6:7], v[24:25], -v[6:7]
	v_add_f64 v[0:1], v[10:11], v[0:1]
	v_fma_f64 v[16:17], v[16:17], v[61:62], v[18:19]
	v_mul_f64 v[22:23], v[8:9], v[32:33]
	v_mul_f64 v[32:33], v[2:3], v[32:33]
	v_add_f64 v[28:29], v[4:5], -v[28:29]
	v_add_f64 v[18:19], v[14:15], -v[49:50]
	v_fma_f64 v[12:13], v[26:27], v[36:37], v[12:13]
	v_fma_f64 v[24:25], v[24:25], 2.0, -v[6:7]
	v_fma_f64 v[10:11], v[10:11], 2.0, -v[0:1]
	v_fma_f64 v[2:3], v[30:31], v[2:3], v[22:23]
	v_fma_f64 v[22:23], v[26:27], v[34:35], -v[40:41]
	v_fma_f64 v[26:27], v[4:5], 2.0, -v[28:29]
	v_fma_f64 v[14:15], v[14:15], 2.0, -v[18:19]
	v_fma_f64 v[8:9], v[30:31], v[8:9], -v[32:33]
	v_mul_f64 v[30:31], v[24:25], v[16:17]
	v_mul_f64 v[16:17], v[10:11], v[16:17]
	;; [unrolled: 1-line block ×8, first 2 shown]
	v_fma_f64 v[0:1], v[0:1], v[8:9], v[4:5]
	v_fma_f64 v[2:3], v[6:7], v[8:9], -v[2:3]
	v_fma_f64 v[4:5], v[10:11], v[38:39], v[30:31]
	v_fma_f64 v[6:7], v[24:25], v[38:39], -v[16:17]
	;; [unrolled: 2-line block ×4, first 2 shown]
	ds_write_b128 v46, v[0:3] offset:2016
	ds_write_b128 v46, v[4:7] offset:672
	ds_write_b128 v46, v[8:11] offset:1344
	ds_write_b128 v46, v[12:15]
	s_waitcnt lgkmcnt(0)
	s_barrier
	s_and_saveexec_b64 s[0:1], s[4:5]
	s_cbranch_execz .LBB0_28
; %bb.27:
	v_mad_u64_u32 v[4:5], s[0:1], s10, v44, 0
	v_mad_u64_u32 v[6:7], s[0:1], s8, v42, 0
	v_mov_b32_e32 v0, v5
	v_mad_u64_u32 v[0:1], s[0:1], s11, v44, v[0:1]
	v_mov_b32_e32 v1, v7
	;; [unrolled: 2-line block ×3, first 2 shown]
	s_lshl_b64 s[0:1], s[2:3], 4
	v_mul_u32_u24_e32 v0, 0xa80, v44
	s_add_u32 s0, s16, s0
	v_lshlrev_b64 v[4:5], 4, v[4:5]
	v_add3_u32 v14, 0, v0, v45
	s_addc_u32 s1, s17, s1
	v_mov_b32_e32 v7, v1
	ds_read_b128 v[0:3], v14
	v_mov_b32_e32 v8, s1
	v_add_co_u32_e32 v15, vcc, s0, v4
	v_addc_co_u32_e32 v16, vcc, v8, v5, vcc
	v_lshlrev_b64 v[4:5], 4, v[6:7]
	v_mad_u64_u32 v[8:9], s[0:1], s8, v43, 0
	v_add_co_u32_e32 v10, vcc, v15, v4
	v_addc_co_u32_e32 v11, vcc, v16, v5, vcc
	ds_read_b128 v[4:7], v14 offset:672
	s_waitcnt lgkmcnt(1)
	global_store_dwordx4 v[10:11], v[0:3], off
	s_nop 0
	v_mov_b32_e32 v0, v9
	v_mad_u64_u32 v[0:1], s[0:1], s9, v43, v[0:1]
	v_add_u32_e32 v3, 0x54, v42
	v_mad_u64_u32 v[1:2], s[0:1], s8, v3, 0
	v_mov_b32_e32 v9, v0
	v_lshlrev_b64 v[8:9], 4, v[8:9]
	v_mov_b32_e32 v0, v2
	v_add_co_u32_e32 v8, vcc, v15, v8
	v_mad_u64_u32 v[2:3], s[0:1], s9, v3, v[0:1]
	v_addc_co_u32_e32 v9, vcc, v16, v9, vcc
	s_waitcnt lgkmcnt(0)
	global_store_dwordx4 v[8:9], v[4:7], off
	v_lshlrev_b64 v[0:1], 4, v[1:2]
	v_add_u32_e32 v5, 0x7e, v42
	v_mad_u64_u32 v[8:9], s[0:1], s8, v5, 0
	v_add_co_u32_e32 v10, vcc, v15, v0
	v_mov_b32_e32 v4, v9
	v_addc_co_u32_e32 v11, vcc, v16, v1, vcc
	ds_read_b128 v[0:3], v14 offset:1344
	v_mad_u64_u32 v[12:13], s[0:1], s9, v5, v[4:5]
	ds_read_b128 v[4:7], v14 offset:2016
	v_mov_b32_e32 v9, v12
	s_waitcnt lgkmcnt(1)
	global_store_dwordx4 v[10:11], v[0:3], off
	s_nop 0
	v_lshlrev_b64 v[0:1], 4, v[8:9]
	v_add_co_u32_e32 v0, vcc, v15, v0
	v_addc_co_u32_e32 v1, vcc, v16, v1, vcc
	s_waitcnt lgkmcnt(0)
	global_store_dwordx4 v[0:1], v[4:7], off
.LBB0_28:
	s_endpgm
	.section	.rodata,"a",@progbits
	.p2align	6, 0x0
	.amdhsa_kernel fft_rtc_back_len168_factors_7_6_4_wgs_252_tpt_42_halfLds_dp_ip_CI_sbcc_twdbase8_3step
		.amdhsa_group_segment_fixed_size 0
		.amdhsa_private_segment_fixed_size 0
		.amdhsa_kernarg_size 96
		.amdhsa_user_sgpr_count 6
		.amdhsa_user_sgpr_private_segment_buffer 1
		.amdhsa_user_sgpr_dispatch_ptr 0
		.amdhsa_user_sgpr_queue_ptr 0
		.amdhsa_user_sgpr_kernarg_segment_ptr 1
		.amdhsa_user_sgpr_dispatch_id 0
		.amdhsa_user_sgpr_flat_scratch_init 0
		.amdhsa_user_sgpr_private_segment_size 0
		.amdhsa_uses_dynamic_stack 0
		.amdhsa_system_sgpr_private_segment_wavefront_offset 0
		.amdhsa_system_sgpr_workgroup_id_x 1
		.amdhsa_system_sgpr_workgroup_id_y 0
		.amdhsa_system_sgpr_workgroup_id_z 0
		.amdhsa_system_sgpr_workgroup_info 0
		.amdhsa_system_vgpr_workitem_id 0
		.amdhsa_next_free_vgpr 66
		.amdhsa_next_free_sgpr 45
		.amdhsa_reserve_vcc 1
		.amdhsa_reserve_flat_scratch 0
		.amdhsa_float_round_mode_32 0
		.amdhsa_float_round_mode_16_64 0
		.amdhsa_float_denorm_mode_32 3
		.amdhsa_float_denorm_mode_16_64 3
		.amdhsa_dx10_clamp 1
		.amdhsa_ieee_mode 1
		.amdhsa_fp16_overflow 0
		.amdhsa_exception_fp_ieee_invalid_op 0
		.amdhsa_exception_fp_denorm_src 0
		.amdhsa_exception_fp_ieee_div_zero 0
		.amdhsa_exception_fp_ieee_overflow 0
		.amdhsa_exception_fp_ieee_underflow 0
		.amdhsa_exception_fp_ieee_inexact 0
		.amdhsa_exception_int_div_zero 0
	.end_amdhsa_kernel
	.text
.Lfunc_end0:
	.size	fft_rtc_back_len168_factors_7_6_4_wgs_252_tpt_42_halfLds_dp_ip_CI_sbcc_twdbase8_3step, .Lfunc_end0-fft_rtc_back_len168_factors_7_6_4_wgs_252_tpt_42_halfLds_dp_ip_CI_sbcc_twdbase8_3step
                                        ; -- End function
	.section	.AMDGPU.csdata,"",@progbits
; Kernel info:
; codeLenInByte = 5928
; NumSgprs: 49
; NumVgprs: 66
; ScratchSize: 0
; MemoryBound: 0
; FloatMode: 240
; IeeeMode: 1
; LDSByteSize: 0 bytes/workgroup (compile time only)
; SGPRBlocks: 6
; VGPRBlocks: 16
; NumSGPRsForWavesPerEU: 49
; NumVGPRsForWavesPerEU: 66
; Occupancy: 3
; WaveLimiterHint : 1
; COMPUTE_PGM_RSRC2:SCRATCH_EN: 0
; COMPUTE_PGM_RSRC2:USER_SGPR: 6
; COMPUTE_PGM_RSRC2:TRAP_HANDLER: 0
; COMPUTE_PGM_RSRC2:TGID_X_EN: 1
; COMPUTE_PGM_RSRC2:TGID_Y_EN: 0
; COMPUTE_PGM_RSRC2:TGID_Z_EN: 0
; COMPUTE_PGM_RSRC2:TIDIG_COMP_CNT: 0
	.type	__hip_cuid_2b619302a43c67cc,@object ; @__hip_cuid_2b619302a43c67cc
	.section	.bss,"aw",@nobits
	.globl	__hip_cuid_2b619302a43c67cc
__hip_cuid_2b619302a43c67cc:
	.byte	0                               ; 0x0
	.size	__hip_cuid_2b619302a43c67cc, 1

	.ident	"AMD clang version 19.0.0git (https://github.com/RadeonOpenCompute/llvm-project roc-6.4.0 25133 c7fe45cf4b819c5991fe208aaa96edf142730f1d)"
	.section	".note.GNU-stack","",@progbits
	.addrsig
	.addrsig_sym __hip_cuid_2b619302a43c67cc
	.amdgpu_metadata
---
amdhsa.kernels:
  - .args:
      - .actual_access:  read_only
        .address_space:  global
        .offset:         0
        .size:           8
        .value_kind:     global_buffer
      - .address_space:  global
        .offset:         8
        .size:           8
        .value_kind:     global_buffer
      - .offset:         16
        .size:           8
        .value_kind:     by_value
      - .actual_access:  read_only
        .address_space:  global
        .offset:         24
        .size:           8
        .value_kind:     global_buffer
      - .actual_access:  read_only
        .address_space:  global
        .offset:         32
        .size:           8
        .value_kind:     global_buffer
      - .offset:         40
        .size:           8
        .value_kind:     by_value
      - .actual_access:  read_only
        .address_space:  global
        .offset:         48
        .size:           8
        .value_kind:     global_buffer
      - .actual_access:  read_only
        .address_space:  global
        .offset:         56
        .size:           8
        .value_kind:     global_buffer
      - .offset:         64
        .size:           4
        .value_kind:     by_value
      - .actual_access:  read_only
        .address_space:  global
        .offset:         72
        .size:           8
        .value_kind:     global_buffer
      - .actual_access:  read_only
        .address_space:  global
        .offset:         80
        .size:           8
        .value_kind:     global_buffer
      - .address_space:  global
        .offset:         88
        .size:           8
        .value_kind:     global_buffer
    .group_segment_fixed_size: 0
    .kernarg_segment_align: 8
    .kernarg_segment_size: 96
    .language:       OpenCL C
    .language_version:
      - 2
      - 0
    .max_flat_workgroup_size: 252
    .name:           fft_rtc_back_len168_factors_7_6_4_wgs_252_tpt_42_halfLds_dp_ip_CI_sbcc_twdbase8_3step
    .private_segment_fixed_size: 0
    .sgpr_count:     49
    .sgpr_spill_count: 0
    .symbol:         fft_rtc_back_len168_factors_7_6_4_wgs_252_tpt_42_halfLds_dp_ip_CI_sbcc_twdbase8_3step.kd
    .uniform_work_group_size: 1
    .uses_dynamic_stack: false
    .vgpr_count:     66
    .vgpr_spill_count: 0
    .wavefront_size: 64
amdhsa.target:   amdgcn-amd-amdhsa--gfx906
amdhsa.version:
  - 1
  - 2
...

	.end_amdgpu_metadata
